;; amdgpu-corpus repo=LLNL/RAJAPerf kind=compiled arch=gfx906 opt=O3
	.amdgcn_target "amdgcn-amd-amdhsa--gfx906"
	.amdhsa_code_object_version 6
	.section	.text._ZN8rajaperf4apps5vol3dILm256EEEvPdS2_S2_S2_S2_S2_S2_S2_S2_S2_S2_S2_S2_S2_S2_S2_S2_S2_S2_S2_S2_S2_S2_S2_S2_dll,"axG",@progbits,_ZN8rajaperf4apps5vol3dILm256EEEvPdS2_S2_S2_S2_S2_S2_S2_S2_S2_S2_S2_S2_S2_S2_S2_S2_S2_S2_S2_S2_S2_S2_S2_S2_dll,comdat
	.protected	_ZN8rajaperf4apps5vol3dILm256EEEvPdS2_S2_S2_S2_S2_S2_S2_S2_S2_S2_S2_S2_S2_S2_S2_S2_S2_S2_S2_S2_S2_S2_S2_S2_dll ; -- Begin function _ZN8rajaperf4apps5vol3dILm256EEEvPdS2_S2_S2_S2_S2_S2_S2_S2_S2_S2_S2_S2_S2_S2_S2_S2_S2_S2_S2_S2_S2_S2_S2_S2_dll
	.globl	_ZN8rajaperf4apps5vol3dILm256EEEvPdS2_S2_S2_S2_S2_S2_S2_S2_S2_S2_S2_S2_S2_S2_S2_S2_S2_S2_S2_S2_S2_S2_S2_S2_dll
	.p2align	8
	.type	_ZN8rajaperf4apps5vol3dILm256EEEvPdS2_S2_S2_S2_S2_S2_S2_S2_S2_S2_S2_S2_S2_S2_S2_S2_S2_S2_S2_S2_S2_S2_S2_S2_dll,@function
_ZN8rajaperf4apps5vol3dILm256EEEvPdS2_S2_S2_S2_S2_S2_S2_S2_S2_S2_S2_S2_S2_S2_S2_S2_S2_S2_S2_S2_S2_S2_S2_S2_dll: ; @_ZN8rajaperf4apps5vol3dILm256EEEvPdS2_S2_S2_S2_S2_S2_S2_S2_S2_S2_S2_S2_S2_S2_S2_S2_S2_S2_S2_S2_S2_S2_S2_S2_dll
; %bb.0:
	s_load_dwordx8 s[24:31], s[4:5], 0xc0
	s_mov_b32 s7, 0
	s_lshl_b64 s[0:1], s[6:7], 8
	s_waitcnt lgkmcnt(0)
	s_add_u32 s0, s28, s0
	s_addc_u32 s1, s29, s1
	v_mov_b32_e32 v1, s1
	v_add_co_u32_e32 v0, vcc, s0, v0
	v_addc_co_u32_e32 v1, vcc, 0, v1, vcc
	v_cmp_gt_i64_e32 vcc, s[30:31], v[0:1]
	s_and_saveexec_b64 s[0:1], vcc
	s_cbranch_execz .LBB0_2
; %bb.1:
	s_load_dwordx16 s[52:67], s[4:5], 0x40
	s_load_dwordx16 s[8:23], s[4:5], 0x0
	s_load_dwordx16 s[36:51], s[4:5], 0x80
	v_lshlrev_b64 v[0:1], 3, v[0:1]
	v_mov_b32_e32 v19, s25
	s_waitcnt lgkmcnt(0)
	v_mov_b32_e32 v3, s53
	v_add_co_u32_e32 v2, vcc, s52, v0
	v_addc_co_u32_e32 v3, vcc, v3, v1, vcc
	v_mov_b32_e32 v5, s15
	v_add_co_u32_e32 v4, vcc, s14, v0
	v_addc_co_u32_e32 v5, vcc, v5, v1, vcc
	;; [unrolled: 3-line block ×8, first 2 shown]
	v_add_co_u32_e32 v18, vcc, s24, v0
	v_addc_co_u32_e32 v19, vcc, v19, v1, vcc
	v_mov_b32_e32 v21, s45
	v_add_co_u32_e32 v20, vcc, s44, v0
	v_addc_co_u32_e32 v21, vcc, v21, v1, vcc
	v_mov_b32_e32 v23, s39
	v_add_co_u32_e32 v22, vcc, s38, v0
	v_addc_co_u32_e32 v23, vcc, v23, v1, vcc
	global_load_dwordx2 v[2:3], v[2:3], off
	s_nop 0
	global_load_dwordx2 v[24:25], v[4:5], off
	global_load_dwordx2 v[26:27], v[20:21], off
	;; [unrolled: 1-line block ×3, first 2 shown]
	v_mov_b32_e32 v30, s43
	v_add_co_u32_e32 v4, vcc, s42, v0
	v_addc_co_u32_e32 v5, vcc, v30, v1, vcc
	global_load_dwordx2 v[20:21], v[6:7], off
	global_load_dwordx2 v[22:23], v[8:9], off
	;; [unrolled: 1-line block ×8, first 2 shown]
	v_mov_b32_e32 v5, s13
	v_add_co_u32_e32 v4, vcc, s12, v0
	v_addc_co_u32_e32 v5, vcc, v5, v1, vcc
	v_mov_b32_e32 v7, s61
	v_add_co_u32_e32 v6, vcc, s60, v0
	v_addc_co_u32_e32 v7, vcc, v7, v1, vcc
	global_load_dwordx2 v[6:7], v[6:7], off
	v_mov_b32_e32 v9, s59
	v_add_co_u32_e32 v8, vcc, s58, v0
	v_addc_co_u32_e32 v9, vcc, v9, v1, vcc
	v_mov_b32_e32 v14, s23
	global_load_dwordx2 v[10:11], v[4:5], off
	global_load_dwordx2 v[12:13], v[8:9], off
	v_add_co_u32_e32 v4, vcc, s22, v0
	v_addc_co_u32_e32 v5, vcc, v14, v1, vcc
	global_load_dwordx2 v[4:5], v[4:5], off
	v_mov_b32_e32 v43, s21
	s_waitcnt vmcnt(14)
	v_add_f64 v[8:9], v[2:3], -v[24:25]
	s_waitcnt vmcnt(12)
	v_add_f64 v[14:15], v[26:27], -v[28:29]
	;; [unrolled: 2-line block ×6, first 2 shown]
	v_mul_f64 v[20:21], v[8:9], v[14:15]
	v_add_f64 v[36:37], v[24:25], v[26:27]
	v_fma_f64 v[20:21], v[16:17], v[18:19], -v[20:21]
	s_waitcnt vmcnt(3)
	v_add_f64 v[6:7], v[6:7], -v[38:39]
	s_waitcnt vmcnt(2)
	v_add_f64 v[10:11], v[2:3], -v[10:11]
	;; [unrolled: 2-line block ×3, first 2 shown]
	v_mul_f64 v[32:33], v[6:7], v[18:19]
	v_mul_f64 v[20:21], v[36:37], v[20:21]
	v_mov_b32_e32 v36, s41
	v_mov_b32_e32 v37, s51
	s_waitcnt vmcnt(0)
	v_add_f64 v[4:5], v[4:5], -v[22:23]
	v_fma_f64 v[32:33], v[12:13], v[14:15], -v[32:33]
	v_add_f64 v[40:41], v[10:11], v[4:5]
	v_fma_f64 v[20:21], v[40:41], v[32:33], v[20:21]
	v_add_co_u32_e32 v32, vcc, s40, v0
	v_addc_co_u32_e32 v33, vcc, v36, v1, vcc
	v_add_co_u32_e32 v36, vcc, s50, v0
	v_addc_co_u32_e32 v37, vcc, v37, v1, vcc
	v_mov_b32_e32 v41, s19
	v_add_co_u32_e32 v40, vcc, s18, v0
	v_addc_co_u32_e32 v41, vcc, v41, v1, vcc
	v_add_co_u32_e32 v42, vcc, s20, v0
	v_addc_co_u32_e32 v43, vcc, v43, v1, vcc
	global_load_dwordx2 v[44:45], v[40:41], off
	global_load_dwordx2 v[46:47], v[42:43], off
	v_mov_b32_e32 v41, s63
	v_add_co_u32_e32 v40, vcc, s62, v0
	v_addc_co_u32_e32 v41, vcc, v41, v1, vcc
	v_mov_b32_e32 v43, s47
	v_add_co_u32_e32 v42, vcc, s46, v0
	v_addc_co_u32_e32 v43, vcc, v43, v1, vcc
	s_waitcnt vmcnt(1)
	v_add_f64 v[2:3], v[2:3], -v[44:45]
	s_waitcnt vmcnt(0)
	v_add_f64 v[22:23], v[46:47], -v[22:23]
	global_load_dwordx2 v[44:45], v[32:33], off
	global_load_dwordx2 v[46:47], v[42:43], off
	v_mov_b32_e32 v43, s65
	v_add_co_u32_e32 v42, vcc, s64, v0
	v_addc_co_u32_e32 v43, vcc, v43, v1, vcc
	s_waitcnt vmcnt(1)
	v_add_f64 v[32:33], v[34:35], -v[44:45]
	s_waitcnt vmcnt(0)
	v_add_f64 v[34:35], v[34:35], -v[46:47]
	global_load_dwordx2 v[44:45], v[36:37], off
	global_load_dwordx2 v[46:47], v[42:43], off
                                        ; kill: killed $vgpr42 killed $vgpr43
                                        ; kill: killed $vgpr36 killed $vgpr37
	s_nop 0
	global_load_dwordx2 v[36:37], v[40:41], off
	s_waitcnt vmcnt(2)
	v_add_f64 v[40:41], v[44:45], -v[28:29]
	s_waitcnt vmcnt(1)
	v_add_f64 v[38:39], v[46:47], -v[38:39]
	;; [unrolled: 2-line block ×3, first 2 shown]
	v_mul_f64 v[42:43], v[2:3], v[40:41]
	v_add_f64 v[36:37], v[12:13], v[38:39]
	v_mul_f64 v[12:13], v[16:17], v[12:13]
	v_fma_f64 v[42:43], v[4:5], v[34:35], -v[42:43]
	v_mul_f64 v[4:5], v[4:5], v[30:31]
	v_fma_f64 v[12:13], v[8:9], v[6:7], -v[12:13]
	v_add_f64 v[6:7], v[30:31], v[6:7]
	v_add_f64 v[8:9], v[8:9], v[22:23]
	v_mul_f64 v[36:37], v[36:37], v[42:43]
	v_mov_b32_e32 v43, s49
	v_add_co_u32_e32 v42, vcc, s48, v0
	v_addc_co_u32_e32 v43, vcc, v43, v1, vcc
	global_load_dwordx2 v[42:43], v[42:43], off
	v_fma_f64 v[4:5], v[2:3], v[26:27], -v[4:5]
	v_add_f64 v[2:3], v[2:3], v[16:17]
	v_add_co_u32_e32 v0, vcc, s8, v0
	s_waitcnt vmcnt(0)
	v_add_f64 v[28:29], v[42:43], -v[28:29]
	v_mul_f64 v[42:43], v[26:27], v[34:35]
	v_add_f64 v[16:17], v[18:19], v[28:29]
	v_fma_f64 v[42:43], v[30:31], v[40:41], -v[42:43]
	v_mul_f64 v[30:31], v[10:11], v[28:29]
	v_add_f64 v[40:41], v[32:33], v[40:41]
	v_fma_f64 v[8:9], v[8:9], v[42:43], v[36:37]
	v_fma_f64 v[30:31], v[22:23], v[32:33], -v[30:31]
	v_mul_f64 v[32:33], v[38:39], v[32:33]
	v_mul_f64 v[22:23], v[22:23], v[24:25]
	v_fma_f64 v[12:13], v[12:13], v[40:41], v[20:21]
	v_fma_f64 v[4:5], v[4:5], v[16:17], v[8:9]
	v_mul_f64 v[6:7], v[6:7], v[30:31]
	v_fma_f64 v[18:19], v[24:25], v[28:29], -v[32:33]
	v_add_f64 v[8:9], v[34:35], v[14:15]
	v_fma_f64 v[10:11], v[10:11], v[38:39], -v[22:23]
	v_add_f64 v[4:5], v[12:13], v[4:5]
	v_fma_f64 v[2:3], v[2:3], v[18:19], v[6:7]
	v_fma_f64 v[2:3], v[10:11], v[8:9], v[2:3]
	v_add_f64 v[2:3], v[2:3], v[4:5]
	v_mov_b32_e32 v4, s9
	v_addc_co_u32_e32 v1, vcc, v4, v1, vcc
	v_mul_f64 v[2:3], s[26:27], v[2:3]
	global_store_dwordx2 v[0:1], v[2:3], off
.LBB0_2:
	s_endpgm
	.section	.rodata,"a",@progbits
	.p2align	6, 0x0
	.amdhsa_kernel _ZN8rajaperf4apps5vol3dILm256EEEvPdS2_S2_S2_S2_S2_S2_S2_S2_S2_S2_S2_S2_S2_S2_S2_S2_S2_S2_S2_S2_S2_S2_S2_S2_dll
		.amdhsa_group_segment_fixed_size 0
		.amdhsa_private_segment_fixed_size 0
		.amdhsa_kernarg_size 224
		.amdhsa_user_sgpr_count 6
		.amdhsa_user_sgpr_private_segment_buffer 1
		.amdhsa_user_sgpr_dispatch_ptr 0
		.amdhsa_user_sgpr_queue_ptr 0
		.amdhsa_user_sgpr_kernarg_segment_ptr 1
		.amdhsa_user_sgpr_dispatch_id 0
		.amdhsa_user_sgpr_flat_scratch_init 0
		.amdhsa_user_sgpr_private_segment_size 0
		.amdhsa_uses_dynamic_stack 0
		.amdhsa_system_sgpr_private_segment_wavefront_offset 0
		.amdhsa_system_sgpr_workgroup_id_x 1
		.amdhsa_system_sgpr_workgroup_id_y 0
		.amdhsa_system_sgpr_workgroup_id_z 0
		.amdhsa_system_sgpr_workgroup_info 0
		.amdhsa_system_vgpr_workitem_id 0
		.amdhsa_next_free_vgpr 48
		.amdhsa_next_free_sgpr 68
		.amdhsa_reserve_vcc 1
		.amdhsa_reserve_flat_scratch 0
		.amdhsa_float_round_mode_32 0
		.amdhsa_float_round_mode_16_64 0
		.amdhsa_float_denorm_mode_32 3
		.amdhsa_float_denorm_mode_16_64 3
		.amdhsa_dx10_clamp 1
		.amdhsa_ieee_mode 1
		.amdhsa_fp16_overflow 0
		.amdhsa_exception_fp_ieee_invalid_op 0
		.amdhsa_exception_fp_denorm_src 0
		.amdhsa_exception_fp_ieee_div_zero 0
		.amdhsa_exception_fp_ieee_overflow 0
		.amdhsa_exception_fp_ieee_underflow 0
		.amdhsa_exception_fp_ieee_inexact 0
		.amdhsa_exception_int_div_zero 0
	.end_amdhsa_kernel
	.section	.text._ZN8rajaperf4apps5vol3dILm256EEEvPdS2_S2_S2_S2_S2_S2_S2_S2_S2_S2_S2_S2_S2_S2_S2_S2_S2_S2_S2_S2_S2_S2_S2_S2_dll,"axG",@progbits,_ZN8rajaperf4apps5vol3dILm256EEEvPdS2_S2_S2_S2_S2_S2_S2_S2_S2_S2_S2_S2_S2_S2_S2_S2_S2_S2_S2_S2_S2_S2_S2_S2_dll,comdat
.Lfunc_end0:
	.size	_ZN8rajaperf4apps5vol3dILm256EEEvPdS2_S2_S2_S2_S2_S2_S2_S2_S2_S2_S2_S2_S2_S2_S2_S2_S2_S2_S2_S2_S2_S2_S2_S2_dll, .Lfunc_end0-_ZN8rajaperf4apps5vol3dILm256EEEvPdS2_S2_S2_S2_S2_S2_S2_S2_S2_S2_S2_S2_S2_S2_S2_S2_S2_S2_S2_S2_S2_S2_S2_S2_dll
                                        ; -- End function
	.set _ZN8rajaperf4apps5vol3dILm256EEEvPdS2_S2_S2_S2_S2_S2_S2_S2_S2_S2_S2_S2_S2_S2_S2_S2_S2_S2_S2_S2_S2_S2_S2_S2_dll.num_vgpr, 48
	.set _ZN8rajaperf4apps5vol3dILm256EEEvPdS2_S2_S2_S2_S2_S2_S2_S2_S2_S2_S2_S2_S2_S2_S2_S2_S2_S2_S2_S2_S2_S2_S2_S2_dll.num_agpr, 0
	.set _ZN8rajaperf4apps5vol3dILm256EEEvPdS2_S2_S2_S2_S2_S2_S2_S2_S2_S2_S2_S2_S2_S2_S2_S2_S2_S2_S2_S2_S2_S2_S2_S2_dll.numbered_sgpr, 68
	.set _ZN8rajaperf4apps5vol3dILm256EEEvPdS2_S2_S2_S2_S2_S2_S2_S2_S2_S2_S2_S2_S2_S2_S2_S2_S2_S2_S2_S2_S2_S2_S2_S2_dll.num_named_barrier, 0
	.set _ZN8rajaperf4apps5vol3dILm256EEEvPdS2_S2_S2_S2_S2_S2_S2_S2_S2_S2_S2_S2_S2_S2_S2_S2_S2_S2_S2_S2_S2_S2_S2_S2_dll.private_seg_size, 0
	.set _ZN8rajaperf4apps5vol3dILm256EEEvPdS2_S2_S2_S2_S2_S2_S2_S2_S2_S2_S2_S2_S2_S2_S2_S2_S2_S2_S2_S2_S2_S2_S2_S2_dll.uses_vcc, 1
	.set _ZN8rajaperf4apps5vol3dILm256EEEvPdS2_S2_S2_S2_S2_S2_S2_S2_S2_S2_S2_S2_S2_S2_S2_S2_S2_S2_S2_S2_S2_S2_S2_S2_dll.uses_flat_scratch, 0
	.set _ZN8rajaperf4apps5vol3dILm256EEEvPdS2_S2_S2_S2_S2_S2_S2_S2_S2_S2_S2_S2_S2_S2_S2_S2_S2_S2_S2_S2_S2_S2_S2_S2_dll.has_dyn_sized_stack, 0
	.set _ZN8rajaperf4apps5vol3dILm256EEEvPdS2_S2_S2_S2_S2_S2_S2_S2_S2_S2_S2_S2_S2_S2_S2_S2_S2_S2_S2_S2_S2_S2_S2_S2_dll.has_recursion, 0
	.set _ZN8rajaperf4apps5vol3dILm256EEEvPdS2_S2_S2_S2_S2_S2_S2_S2_S2_S2_S2_S2_S2_S2_S2_S2_S2_S2_S2_S2_S2_S2_S2_S2_dll.has_indirect_call, 0
	.section	.AMDGPU.csdata,"",@progbits
; Kernel info:
; codeLenInByte = 1128
; TotalNumSgprs: 72
; NumVgprs: 48
; ScratchSize: 0
; MemoryBound: 0
; FloatMode: 240
; IeeeMode: 1
; LDSByteSize: 0 bytes/workgroup (compile time only)
; SGPRBlocks: 8
; VGPRBlocks: 11
; NumSGPRsForWavesPerEU: 72
; NumVGPRsForWavesPerEU: 48
; Occupancy: 5
; WaveLimiterHint : 0
; COMPUTE_PGM_RSRC2:SCRATCH_EN: 0
; COMPUTE_PGM_RSRC2:USER_SGPR: 6
; COMPUTE_PGM_RSRC2:TRAP_HANDLER: 0
; COMPUTE_PGM_RSRC2:TGID_X_EN: 1
; COMPUTE_PGM_RSRC2:TGID_Y_EN: 0
; COMPUTE_PGM_RSRC2:TGID_Z_EN: 0
; COMPUTE_PGM_RSRC2:TIDIG_COMP_CNT: 0
	.section	.text._ZN4RAJA6policy3hip4impl18forallp_hip_kernelINS1_8hip_execINS_17iteration_mapping6DirectENS_3hip11IndexGlobalILNS_9named_dimE0ELi256ELi0EEENS7_40AvoidDeviceMaxThreadOccupancyConcretizerINS7_34FractionOffsetOccupancyConcretizerINS_8FractionImLm1ELm1EEELln1EEEEELb1EEENS_9Iterators16numeric_iteratorIllPlEEZN8rajaperf4apps5VOL3D17runHipVariantImplILm256EEEvNSM_9VariantIDEEUllE_lNS_4expt15ForallParamPackIJEEES6_SA_TnNSt9enable_ifIXaasr3std10is_base_ofINS5_10DirectBaseET4_EE5valuegtsrT5_10block_sizeLi0EEmE4typeELm256EEEvT1_T0_T2_T3_,"axG",@progbits,_ZN4RAJA6policy3hip4impl18forallp_hip_kernelINS1_8hip_execINS_17iteration_mapping6DirectENS_3hip11IndexGlobalILNS_9named_dimE0ELi256ELi0EEENS7_40AvoidDeviceMaxThreadOccupancyConcretizerINS7_34FractionOffsetOccupancyConcretizerINS_8FractionImLm1ELm1EEELln1EEEEELb1EEENS_9Iterators16numeric_iteratorIllPlEEZN8rajaperf4apps5VOL3D17runHipVariantImplILm256EEEvNSM_9VariantIDEEUllE_lNS_4expt15ForallParamPackIJEEES6_SA_TnNSt9enable_ifIXaasr3std10is_base_ofINS5_10DirectBaseET4_EE5valuegtsrT5_10block_sizeLi0EEmE4typeELm256EEEvT1_T0_T2_T3_,comdat
	.protected	_ZN4RAJA6policy3hip4impl18forallp_hip_kernelINS1_8hip_execINS_17iteration_mapping6DirectENS_3hip11IndexGlobalILNS_9named_dimE0ELi256ELi0EEENS7_40AvoidDeviceMaxThreadOccupancyConcretizerINS7_34FractionOffsetOccupancyConcretizerINS_8FractionImLm1ELm1EEELln1EEEEELb1EEENS_9Iterators16numeric_iteratorIllPlEEZN8rajaperf4apps5VOL3D17runHipVariantImplILm256EEEvNSM_9VariantIDEEUllE_lNS_4expt15ForallParamPackIJEEES6_SA_TnNSt9enable_ifIXaasr3std10is_base_ofINS5_10DirectBaseET4_EE5valuegtsrT5_10block_sizeLi0EEmE4typeELm256EEEvT1_T0_T2_T3_ ; -- Begin function _ZN4RAJA6policy3hip4impl18forallp_hip_kernelINS1_8hip_execINS_17iteration_mapping6DirectENS_3hip11IndexGlobalILNS_9named_dimE0ELi256ELi0EEENS7_40AvoidDeviceMaxThreadOccupancyConcretizerINS7_34FractionOffsetOccupancyConcretizerINS_8FractionImLm1ELm1EEELln1EEEEELb1EEENS_9Iterators16numeric_iteratorIllPlEEZN8rajaperf4apps5VOL3D17runHipVariantImplILm256EEEvNSM_9VariantIDEEUllE_lNS_4expt15ForallParamPackIJEEES6_SA_TnNSt9enable_ifIXaasr3std10is_base_ofINS5_10DirectBaseET4_EE5valuegtsrT5_10block_sizeLi0EEmE4typeELm256EEEvT1_T0_T2_T3_
	.globl	_ZN4RAJA6policy3hip4impl18forallp_hip_kernelINS1_8hip_execINS_17iteration_mapping6DirectENS_3hip11IndexGlobalILNS_9named_dimE0ELi256ELi0EEENS7_40AvoidDeviceMaxThreadOccupancyConcretizerINS7_34FractionOffsetOccupancyConcretizerINS_8FractionImLm1ELm1EEELln1EEEEELb1EEENS_9Iterators16numeric_iteratorIllPlEEZN8rajaperf4apps5VOL3D17runHipVariantImplILm256EEEvNSM_9VariantIDEEUllE_lNS_4expt15ForallParamPackIJEEES6_SA_TnNSt9enable_ifIXaasr3std10is_base_ofINS5_10DirectBaseET4_EE5valuegtsrT5_10block_sizeLi0EEmE4typeELm256EEEvT1_T0_T2_T3_
	.p2align	8
	.type	_ZN4RAJA6policy3hip4impl18forallp_hip_kernelINS1_8hip_execINS_17iteration_mapping6DirectENS_3hip11IndexGlobalILNS_9named_dimE0ELi256ELi0EEENS7_40AvoidDeviceMaxThreadOccupancyConcretizerINS7_34FractionOffsetOccupancyConcretizerINS_8FractionImLm1ELm1EEELln1EEEEELb1EEENS_9Iterators16numeric_iteratorIllPlEEZN8rajaperf4apps5VOL3D17runHipVariantImplILm256EEEvNSM_9VariantIDEEUllE_lNS_4expt15ForallParamPackIJEEES6_SA_TnNSt9enable_ifIXaasr3std10is_base_ofINS5_10DirectBaseET4_EE5valuegtsrT5_10block_sizeLi0EEmE4typeELm256EEEvT1_T0_T2_T3_,@function
_ZN4RAJA6policy3hip4impl18forallp_hip_kernelINS1_8hip_execINS_17iteration_mapping6DirectENS_3hip11IndexGlobalILNS_9named_dimE0ELi256ELi0EEENS7_40AvoidDeviceMaxThreadOccupancyConcretizerINS7_34FractionOffsetOccupancyConcretizerINS_8FractionImLm1ELm1EEELln1EEEEELb1EEENS_9Iterators16numeric_iteratorIllPlEEZN8rajaperf4apps5VOL3D17runHipVariantImplILm256EEEvNSM_9VariantIDEEUllE_lNS_4expt15ForallParamPackIJEEES6_SA_TnNSt9enable_ifIXaasr3std10is_base_ofINS5_10DirectBaseET4_EE5valuegtsrT5_10block_sizeLi0EEmE4typeELm256EEEvT1_T0_T2_T3_: ; @_ZN4RAJA6policy3hip4impl18forallp_hip_kernelINS1_8hip_execINS_17iteration_mapping6DirectENS_3hip11IndexGlobalILNS_9named_dimE0ELi256ELi0EEENS7_40AvoidDeviceMaxThreadOccupancyConcretizerINS7_34FractionOffsetOccupancyConcretizerINS_8FractionImLm1ELm1EEELln1EEEEELb1EEENS_9Iterators16numeric_iteratorIllPlEEZN8rajaperf4apps5VOL3D17runHipVariantImplILm256EEEvNSM_9VariantIDEEUllE_lNS_4expt15ForallParamPackIJEEES6_SA_TnNSt9enable_ifIXaasr3std10is_base_ofINS5_10DirectBaseET4_EE5valuegtsrT5_10block_sizeLi0EEmE4typeELm256EEEvT1_T0_T2_T3_
; %bb.0:
	s_load_dwordx4 s[0:3], s[4:5], 0xd0
	s_mov_b32 s7, 0
	s_lshl_b64 s[6:7], s[6:7], 8
	v_or_b32_e32 v0, s6, v0
	v_mov_b32_e32 v1, s7
	s_waitcnt lgkmcnt(0)
	v_cmp_gt_i64_e32 vcc, s[2:3], v[0:1]
	s_and_saveexec_b64 s[2:3], vcc
	s_cbranch_execz .LBB1_2
; %bb.1:
	s_load_dwordx16 s[8:23], s[4:5], 0x80
	s_load_dwordx16 s[36:51], s[4:5], 0x40
	;; [unrolled: 1-line block ×3, first 2 shown]
	v_mov_b32_e32 v2, s1
	v_add_co_u32_e32 v0, vcc, s0, v0
	v_addc_co_u32_e32 v1, vcc, v1, v2, vcc
	v_lshlrev_b64 v[0:1], 3, v[0:1]
	s_waitcnt lgkmcnt(0)
	v_mov_b32_e32 v3, s53
	v_add_co_u32_e32 v2, vcc, s52, v0
	v_addc_co_u32_e32 v3, vcc, v3, v1, vcc
	v_mov_b32_e32 v5, s57
	v_add_co_u32_e32 v4, vcc, s56, v0
	v_addc_co_u32_e32 v5, vcc, v5, v1, vcc
	;; [unrolled: 3-line block ×11, first 2 shown]
	global_load_dwordx2 v[2:3], v[2:3], off
	s_nop 0
	global_load_dwordx2 v[24:25], v[4:5], off
	global_load_dwordx2 v[26:27], v[20:21], off
	;; [unrolled: 1-line block ×3, first 2 shown]
	v_mov_b32_e32 v30, s13
	v_add_co_u32_e32 v4, vcc, s12, v0
	v_addc_co_u32_e32 v5, vcc, v30, v1, vcc
	global_load_dwordx2 v[20:21], v[6:7], off
	global_load_dwordx2 v[22:23], v[8:9], off
	;; [unrolled: 1-line block ×8, first 2 shown]
	v_mov_b32_e32 v5, s55
	v_add_co_u32_e32 v4, vcc, s54, v0
	v_addc_co_u32_e32 v5, vcc, v5, v1, vcc
	v_mov_b32_e32 v7, s45
	v_add_co_u32_e32 v6, vcc, s44, v0
	v_addc_co_u32_e32 v7, vcc, v7, v1, vcc
	global_load_dwordx2 v[6:7], v[6:7], off
	v_mov_b32_e32 v9, s41
	v_add_co_u32_e32 v8, vcc, s40, v0
	v_addc_co_u32_e32 v9, vcc, v9, v1, vcc
	v_mov_b32_e32 v14, s67
	global_load_dwordx2 v[10:11], v[4:5], off
	global_load_dwordx2 v[12:13], v[8:9], off
	v_add_co_u32_e32 v4, vcc, s66, v0
	v_addc_co_u32_e32 v5, vcc, v14, v1, vcc
	global_load_dwordx2 v[4:5], v[4:5], off
	v_mov_b32_e32 v43, s65
	s_load_dwordx4 s[0:3], s[4:5], 0xc0
	s_waitcnt vmcnt(14)
	v_add_f64 v[8:9], v[2:3], -v[24:25]
	s_waitcnt vmcnt(12)
	v_add_f64 v[14:15], v[26:27], -v[28:29]
	;; [unrolled: 2-line block ×6, first 2 shown]
	v_mov_b32_e32 v41, s59
	v_mul_f64 v[24:25], v[8:9], v[14:15]
	v_add_f64 v[32:33], v[18:19], v[26:27]
	v_fma_f64 v[24:25], v[16:17], v[20:21], -v[24:25]
	s_waitcnt vmcnt(3)
	v_add_f64 v[6:7], v[6:7], -v[38:39]
	s_waitcnt vmcnt(2)
	v_add_f64 v[10:11], v[2:3], -v[10:11]
	;; [unrolled: 2-line block ×3, first 2 shown]
	v_mul_f64 v[36:37], v[6:7], v[20:21]
	v_mul_f64 v[24:25], v[32:33], v[24:25]
	s_waitcnt vmcnt(0)
	v_add_f64 v[4:5], v[4:5], -v[22:23]
	v_fma_f64 v[32:33], v[12:13], v[14:15], -v[36:37]
	v_add_f64 v[36:37], v[10:11], v[4:5]
	v_fma_f64 v[24:25], v[36:37], v[32:33], v[24:25]
	v_mov_b32_e32 v33, s11
	v_add_co_u32_e32 v32, vcc, s10, v0
	v_addc_co_u32_e32 v33, vcc, v33, v1, vcc
	v_mov_b32_e32 v37, s23
	v_add_co_u32_e32 v36, vcc, s22, v0
	v_addc_co_u32_e32 v37, vcc, v37, v1, vcc
	v_add_co_u32_e32 v40, vcc, s58, v0
	v_addc_co_u32_e32 v41, vcc, v41, v1, vcc
	;; [unrolled: 2-line block ×3, first 2 shown]
	global_load_dwordx2 v[44:45], v[40:41], off
	global_load_dwordx2 v[46:47], v[42:43], off
	v_mov_b32_e32 v41, s43
	v_add_co_u32_e32 v40, vcc, s42, v0
	v_addc_co_u32_e32 v41, vcc, v41, v1, vcc
	v_mov_b32_e32 v43, s15
	v_add_co_u32_e32 v42, vcc, s14, v0
	v_addc_co_u32_e32 v43, vcc, v43, v1, vcc
	s_waitcnt vmcnt(1)
	v_add_f64 v[2:3], v[2:3], -v[44:45]
	s_waitcnt vmcnt(0)
	v_add_f64 v[22:23], v[46:47], -v[22:23]
	global_load_dwordx2 v[44:45], v[32:33], off
	global_load_dwordx2 v[46:47], v[42:43], off
	v_mov_b32_e32 v43, s49
	v_add_co_u32_e32 v42, vcc, s48, v0
	v_addc_co_u32_e32 v43, vcc, v43, v1, vcc
	s_waitcnt vmcnt(1)
	v_add_f64 v[32:33], v[34:35], -v[44:45]
	s_waitcnt vmcnt(0)
	v_add_f64 v[34:35], v[34:35], -v[46:47]
	global_load_dwordx2 v[44:45], v[36:37], off
	global_load_dwordx2 v[46:47], v[42:43], off
                                        ; kill: killed $vgpr42 killed $vgpr43
                                        ; kill: killed $vgpr36 killed $vgpr37
	s_nop 0
	global_load_dwordx2 v[36:37], v[40:41], off
	s_waitcnt vmcnt(2)
	v_add_f64 v[40:41], v[44:45], -v[28:29]
	s_waitcnt vmcnt(1)
	v_add_f64 v[38:39], v[46:47], -v[38:39]
	;; [unrolled: 2-line block ×3, first 2 shown]
	v_mul_f64 v[42:43], v[2:3], v[40:41]
	v_add_f64 v[36:37], v[12:13], v[38:39]
	v_mul_f64 v[12:13], v[16:17], v[12:13]
	v_fma_f64 v[42:43], v[4:5], v[34:35], -v[42:43]
	v_mul_f64 v[4:5], v[4:5], v[30:31]
	v_fma_f64 v[12:13], v[8:9], v[6:7], -v[12:13]
	v_add_f64 v[6:7], v[30:31], v[6:7]
	v_add_f64 v[8:9], v[8:9], v[22:23]
	v_mul_f64 v[36:37], v[36:37], v[42:43]
	v_mov_b32_e32 v43, s21
	v_add_co_u32_e32 v42, vcc, s20, v0
	v_addc_co_u32_e32 v43, vcc, v43, v1, vcc
	global_load_dwordx2 v[42:43], v[42:43], off
	v_fma_f64 v[4:5], v[2:3], v[26:27], -v[4:5]
	v_add_f64 v[2:3], v[2:3], v[16:17]
	s_waitcnt lgkmcnt(0)
	v_add_co_u32_e32 v0, vcc, s0, v0
	s_waitcnt vmcnt(0)
	v_add_f64 v[28:29], v[42:43], -v[28:29]
	v_mul_f64 v[42:43], v[26:27], v[34:35]
	v_add_f64 v[16:17], v[20:21], v[28:29]
	v_fma_f64 v[42:43], v[30:31], v[40:41], -v[42:43]
	v_mul_f64 v[30:31], v[10:11], v[28:29]
	v_add_f64 v[40:41], v[32:33], v[40:41]
	v_fma_f64 v[8:9], v[8:9], v[42:43], v[36:37]
	v_fma_f64 v[30:31], v[22:23], v[32:33], -v[30:31]
	v_mul_f64 v[32:33], v[38:39], v[32:33]
	v_fma_f64 v[12:13], v[12:13], v[40:41], v[24:25]
	v_fma_f64 v[4:5], v[4:5], v[16:17], v[8:9]
	v_mul_f64 v[6:7], v[6:7], v[30:31]
	v_fma_f64 v[20:21], v[18:19], v[28:29], -v[32:33]
	v_mul_f64 v[18:19], v[22:23], v[18:19]
	v_add_f64 v[8:9], v[34:35], v[14:15]
	v_add_f64 v[4:5], v[12:13], v[4:5]
	v_fma_f64 v[2:3], v[2:3], v[20:21], v[6:7]
	v_fma_f64 v[10:11], v[10:11], v[38:39], -v[18:19]
	v_fma_f64 v[2:3], v[10:11], v[8:9], v[2:3]
	v_add_f64 v[2:3], v[2:3], v[4:5]
	v_mov_b32_e32 v4, s1
	v_addc_co_u32_e32 v1, vcc, v4, v1, vcc
	v_mul_f64 v[2:3], s[2:3], v[2:3]
	global_store_dwordx2 v[0:1], v[2:3], off
.LBB1_2:
	s_endpgm
	.section	.rodata,"a",@progbits
	.p2align	6, 0x0
	.amdhsa_kernel _ZN4RAJA6policy3hip4impl18forallp_hip_kernelINS1_8hip_execINS_17iteration_mapping6DirectENS_3hip11IndexGlobalILNS_9named_dimE0ELi256ELi0EEENS7_40AvoidDeviceMaxThreadOccupancyConcretizerINS7_34FractionOffsetOccupancyConcretizerINS_8FractionImLm1ELm1EEELln1EEEEELb1EEENS_9Iterators16numeric_iteratorIllPlEEZN8rajaperf4apps5VOL3D17runHipVariantImplILm256EEEvNSM_9VariantIDEEUllE_lNS_4expt15ForallParamPackIJEEES6_SA_TnNSt9enable_ifIXaasr3std10is_base_ofINS5_10DirectBaseET4_EE5valuegtsrT5_10block_sizeLi0EEmE4typeELm256EEEvT1_T0_T2_T3_
		.amdhsa_group_segment_fixed_size 0
		.amdhsa_private_segment_fixed_size 0
		.amdhsa_kernarg_size 228
		.amdhsa_user_sgpr_count 6
		.amdhsa_user_sgpr_private_segment_buffer 1
		.amdhsa_user_sgpr_dispatch_ptr 0
		.amdhsa_user_sgpr_queue_ptr 0
		.amdhsa_user_sgpr_kernarg_segment_ptr 1
		.amdhsa_user_sgpr_dispatch_id 0
		.amdhsa_user_sgpr_flat_scratch_init 0
		.amdhsa_user_sgpr_private_segment_size 0
		.amdhsa_uses_dynamic_stack 0
		.amdhsa_system_sgpr_private_segment_wavefront_offset 0
		.amdhsa_system_sgpr_workgroup_id_x 1
		.amdhsa_system_sgpr_workgroup_id_y 0
		.amdhsa_system_sgpr_workgroup_id_z 0
		.amdhsa_system_sgpr_workgroup_info 0
		.amdhsa_system_vgpr_workitem_id 0
		.amdhsa_next_free_vgpr 48
		.amdhsa_next_free_sgpr 68
		.amdhsa_reserve_vcc 1
		.amdhsa_reserve_flat_scratch 0
		.amdhsa_float_round_mode_32 0
		.amdhsa_float_round_mode_16_64 0
		.amdhsa_float_denorm_mode_32 3
		.amdhsa_float_denorm_mode_16_64 3
		.amdhsa_dx10_clamp 1
		.amdhsa_ieee_mode 1
		.amdhsa_fp16_overflow 0
		.amdhsa_exception_fp_ieee_invalid_op 0
		.amdhsa_exception_fp_denorm_src 0
		.amdhsa_exception_fp_ieee_div_zero 0
		.amdhsa_exception_fp_ieee_overflow 0
		.amdhsa_exception_fp_ieee_underflow 0
		.amdhsa_exception_fp_ieee_inexact 0
		.amdhsa_exception_int_div_zero 0
	.end_amdhsa_kernel
	.section	.text._ZN4RAJA6policy3hip4impl18forallp_hip_kernelINS1_8hip_execINS_17iteration_mapping6DirectENS_3hip11IndexGlobalILNS_9named_dimE0ELi256ELi0EEENS7_40AvoidDeviceMaxThreadOccupancyConcretizerINS7_34FractionOffsetOccupancyConcretizerINS_8FractionImLm1ELm1EEELln1EEEEELb1EEENS_9Iterators16numeric_iteratorIllPlEEZN8rajaperf4apps5VOL3D17runHipVariantImplILm256EEEvNSM_9VariantIDEEUllE_lNS_4expt15ForallParamPackIJEEES6_SA_TnNSt9enable_ifIXaasr3std10is_base_ofINS5_10DirectBaseET4_EE5valuegtsrT5_10block_sizeLi0EEmE4typeELm256EEEvT1_T0_T2_T3_,"axG",@progbits,_ZN4RAJA6policy3hip4impl18forallp_hip_kernelINS1_8hip_execINS_17iteration_mapping6DirectENS_3hip11IndexGlobalILNS_9named_dimE0ELi256ELi0EEENS7_40AvoidDeviceMaxThreadOccupancyConcretizerINS7_34FractionOffsetOccupancyConcretizerINS_8FractionImLm1ELm1EEELln1EEEEELb1EEENS_9Iterators16numeric_iteratorIllPlEEZN8rajaperf4apps5VOL3D17runHipVariantImplILm256EEEvNSM_9VariantIDEEUllE_lNS_4expt15ForallParamPackIJEEES6_SA_TnNSt9enable_ifIXaasr3std10is_base_ofINS5_10DirectBaseET4_EE5valuegtsrT5_10block_sizeLi0EEmE4typeELm256EEEvT1_T0_T2_T3_,comdat
.Lfunc_end1:
	.size	_ZN4RAJA6policy3hip4impl18forallp_hip_kernelINS1_8hip_execINS_17iteration_mapping6DirectENS_3hip11IndexGlobalILNS_9named_dimE0ELi256ELi0EEENS7_40AvoidDeviceMaxThreadOccupancyConcretizerINS7_34FractionOffsetOccupancyConcretizerINS_8FractionImLm1ELm1EEELln1EEEEELb1EEENS_9Iterators16numeric_iteratorIllPlEEZN8rajaperf4apps5VOL3D17runHipVariantImplILm256EEEvNSM_9VariantIDEEUllE_lNS_4expt15ForallParamPackIJEEES6_SA_TnNSt9enable_ifIXaasr3std10is_base_ofINS5_10DirectBaseET4_EE5valuegtsrT5_10block_sizeLi0EEmE4typeELm256EEEvT1_T0_T2_T3_, .Lfunc_end1-_ZN4RAJA6policy3hip4impl18forallp_hip_kernelINS1_8hip_execINS_17iteration_mapping6DirectENS_3hip11IndexGlobalILNS_9named_dimE0ELi256ELi0EEENS7_40AvoidDeviceMaxThreadOccupancyConcretizerINS7_34FractionOffsetOccupancyConcretizerINS_8FractionImLm1ELm1EEELln1EEEEELb1EEENS_9Iterators16numeric_iteratorIllPlEEZN8rajaperf4apps5VOL3D17runHipVariantImplILm256EEEvNSM_9VariantIDEEUllE_lNS_4expt15ForallParamPackIJEEES6_SA_TnNSt9enable_ifIXaasr3std10is_base_ofINS5_10DirectBaseET4_EE5valuegtsrT5_10block_sizeLi0EEmE4typeELm256EEEvT1_T0_T2_T3_
                                        ; -- End function
	.set _ZN4RAJA6policy3hip4impl18forallp_hip_kernelINS1_8hip_execINS_17iteration_mapping6DirectENS_3hip11IndexGlobalILNS_9named_dimE0ELi256ELi0EEENS7_40AvoidDeviceMaxThreadOccupancyConcretizerINS7_34FractionOffsetOccupancyConcretizerINS_8FractionImLm1ELm1EEELln1EEEEELb1EEENS_9Iterators16numeric_iteratorIllPlEEZN8rajaperf4apps5VOL3D17runHipVariantImplILm256EEEvNSM_9VariantIDEEUllE_lNS_4expt15ForallParamPackIJEEES6_SA_TnNSt9enable_ifIXaasr3std10is_base_ofINS5_10DirectBaseET4_EE5valuegtsrT5_10block_sizeLi0EEmE4typeELm256EEEvT1_T0_T2_T3_.num_vgpr, 48
	.set _ZN4RAJA6policy3hip4impl18forallp_hip_kernelINS1_8hip_execINS_17iteration_mapping6DirectENS_3hip11IndexGlobalILNS_9named_dimE0ELi256ELi0EEENS7_40AvoidDeviceMaxThreadOccupancyConcretizerINS7_34FractionOffsetOccupancyConcretizerINS_8FractionImLm1ELm1EEELln1EEEEELb1EEENS_9Iterators16numeric_iteratorIllPlEEZN8rajaperf4apps5VOL3D17runHipVariantImplILm256EEEvNSM_9VariantIDEEUllE_lNS_4expt15ForallParamPackIJEEES6_SA_TnNSt9enable_ifIXaasr3std10is_base_ofINS5_10DirectBaseET4_EE5valuegtsrT5_10block_sizeLi0EEmE4typeELm256EEEvT1_T0_T2_T3_.num_agpr, 0
	.set _ZN4RAJA6policy3hip4impl18forallp_hip_kernelINS1_8hip_execINS_17iteration_mapping6DirectENS_3hip11IndexGlobalILNS_9named_dimE0ELi256ELi0EEENS7_40AvoidDeviceMaxThreadOccupancyConcretizerINS7_34FractionOffsetOccupancyConcretizerINS_8FractionImLm1ELm1EEELln1EEEEELb1EEENS_9Iterators16numeric_iteratorIllPlEEZN8rajaperf4apps5VOL3D17runHipVariantImplILm256EEEvNSM_9VariantIDEEUllE_lNS_4expt15ForallParamPackIJEEES6_SA_TnNSt9enable_ifIXaasr3std10is_base_ofINS5_10DirectBaseET4_EE5valuegtsrT5_10block_sizeLi0EEmE4typeELm256EEEvT1_T0_T2_T3_.numbered_sgpr, 68
	.set _ZN4RAJA6policy3hip4impl18forallp_hip_kernelINS1_8hip_execINS_17iteration_mapping6DirectENS_3hip11IndexGlobalILNS_9named_dimE0ELi256ELi0EEENS7_40AvoidDeviceMaxThreadOccupancyConcretizerINS7_34FractionOffsetOccupancyConcretizerINS_8FractionImLm1ELm1EEELln1EEEEELb1EEENS_9Iterators16numeric_iteratorIllPlEEZN8rajaperf4apps5VOL3D17runHipVariantImplILm256EEEvNSM_9VariantIDEEUllE_lNS_4expt15ForallParamPackIJEEES6_SA_TnNSt9enable_ifIXaasr3std10is_base_ofINS5_10DirectBaseET4_EE5valuegtsrT5_10block_sizeLi0EEmE4typeELm256EEEvT1_T0_T2_T3_.num_named_barrier, 0
	.set _ZN4RAJA6policy3hip4impl18forallp_hip_kernelINS1_8hip_execINS_17iteration_mapping6DirectENS_3hip11IndexGlobalILNS_9named_dimE0ELi256ELi0EEENS7_40AvoidDeviceMaxThreadOccupancyConcretizerINS7_34FractionOffsetOccupancyConcretizerINS_8FractionImLm1ELm1EEELln1EEEEELb1EEENS_9Iterators16numeric_iteratorIllPlEEZN8rajaperf4apps5VOL3D17runHipVariantImplILm256EEEvNSM_9VariantIDEEUllE_lNS_4expt15ForallParamPackIJEEES6_SA_TnNSt9enable_ifIXaasr3std10is_base_ofINS5_10DirectBaseET4_EE5valuegtsrT5_10block_sizeLi0EEmE4typeELm256EEEvT1_T0_T2_T3_.private_seg_size, 0
	.set _ZN4RAJA6policy3hip4impl18forallp_hip_kernelINS1_8hip_execINS_17iteration_mapping6DirectENS_3hip11IndexGlobalILNS_9named_dimE0ELi256ELi0EEENS7_40AvoidDeviceMaxThreadOccupancyConcretizerINS7_34FractionOffsetOccupancyConcretizerINS_8FractionImLm1ELm1EEELln1EEEEELb1EEENS_9Iterators16numeric_iteratorIllPlEEZN8rajaperf4apps5VOL3D17runHipVariantImplILm256EEEvNSM_9VariantIDEEUllE_lNS_4expt15ForallParamPackIJEEES6_SA_TnNSt9enable_ifIXaasr3std10is_base_ofINS5_10DirectBaseET4_EE5valuegtsrT5_10block_sizeLi0EEmE4typeELm256EEEvT1_T0_T2_T3_.uses_vcc, 1
	.set _ZN4RAJA6policy3hip4impl18forallp_hip_kernelINS1_8hip_execINS_17iteration_mapping6DirectENS_3hip11IndexGlobalILNS_9named_dimE0ELi256ELi0EEENS7_40AvoidDeviceMaxThreadOccupancyConcretizerINS7_34FractionOffsetOccupancyConcretizerINS_8FractionImLm1ELm1EEELln1EEEEELb1EEENS_9Iterators16numeric_iteratorIllPlEEZN8rajaperf4apps5VOL3D17runHipVariantImplILm256EEEvNSM_9VariantIDEEUllE_lNS_4expt15ForallParamPackIJEEES6_SA_TnNSt9enable_ifIXaasr3std10is_base_ofINS5_10DirectBaseET4_EE5valuegtsrT5_10block_sizeLi0EEmE4typeELm256EEEvT1_T0_T2_T3_.uses_flat_scratch, 0
	.set _ZN4RAJA6policy3hip4impl18forallp_hip_kernelINS1_8hip_execINS_17iteration_mapping6DirectENS_3hip11IndexGlobalILNS_9named_dimE0ELi256ELi0EEENS7_40AvoidDeviceMaxThreadOccupancyConcretizerINS7_34FractionOffsetOccupancyConcretizerINS_8FractionImLm1ELm1EEELln1EEEEELb1EEENS_9Iterators16numeric_iteratorIllPlEEZN8rajaperf4apps5VOL3D17runHipVariantImplILm256EEEvNSM_9VariantIDEEUllE_lNS_4expt15ForallParamPackIJEEES6_SA_TnNSt9enable_ifIXaasr3std10is_base_ofINS5_10DirectBaseET4_EE5valuegtsrT5_10block_sizeLi0EEmE4typeELm256EEEvT1_T0_T2_T3_.has_dyn_sized_stack, 0
	.set _ZN4RAJA6policy3hip4impl18forallp_hip_kernelINS1_8hip_execINS_17iteration_mapping6DirectENS_3hip11IndexGlobalILNS_9named_dimE0ELi256ELi0EEENS7_40AvoidDeviceMaxThreadOccupancyConcretizerINS7_34FractionOffsetOccupancyConcretizerINS_8FractionImLm1ELm1EEELln1EEEEELb1EEENS_9Iterators16numeric_iteratorIllPlEEZN8rajaperf4apps5VOL3D17runHipVariantImplILm256EEEvNSM_9VariantIDEEUllE_lNS_4expt15ForallParamPackIJEEES6_SA_TnNSt9enable_ifIXaasr3std10is_base_ofINS5_10DirectBaseET4_EE5valuegtsrT5_10block_sizeLi0EEmE4typeELm256EEEvT1_T0_T2_T3_.has_recursion, 0
	.set _ZN4RAJA6policy3hip4impl18forallp_hip_kernelINS1_8hip_execINS_17iteration_mapping6DirectENS_3hip11IndexGlobalILNS_9named_dimE0ELi256ELi0EEENS7_40AvoidDeviceMaxThreadOccupancyConcretizerINS7_34FractionOffsetOccupancyConcretizerINS_8FractionImLm1ELm1EEELln1EEEEELb1EEENS_9Iterators16numeric_iteratorIllPlEEZN8rajaperf4apps5VOL3D17runHipVariantImplILm256EEEvNSM_9VariantIDEEUllE_lNS_4expt15ForallParamPackIJEEES6_SA_TnNSt9enable_ifIXaasr3std10is_base_ofINS5_10DirectBaseET4_EE5valuegtsrT5_10block_sizeLi0EEmE4typeELm256EEEvT1_T0_T2_T3_.has_indirect_call, 0
	.section	.AMDGPU.csdata,"",@progbits
; Kernel info:
; codeLenInByte = 1140
; TotalNumSgprs: 72
; NumVgprs: 48
; ScratchSize: 0
; MemoryBound: 0
; FloatMode: 240
; IeeeMode: 1
; LDSByteSize: 0 bytes/workgroup (compile time only)
; SGPRBlocks: 8
; VGPRBlocks: 11
; NumSGPRsForWavesPerEU: 72
; NumVGPRsForWavesPerEU: 48
; Occupancy: 5
; WaveLimiterHint : 0
; COMPUTE_PGM_RSRC2:SCRATCH_EN: 0
; COMPUTE_PGM_RSRC2:USER_SGPR: 6
; COMPUTE_PGM_RSRC2:TRAP_HANDLER: 0
; COMPUTE_PGM_RSRC2:TGID_X_EN: 1
; COMPUTE_PGM_RSRC2:TGID_Y_EN: 0
; COMPUTE_PGM_RSRC2:TGID_Z_EN: 0
; COMPUTE_PGM_RSRC2:TIDIG_COMP_CNT: 0
	.section	.AMDGPU.gpr_maximums,"",@progbits
	.set amdgpu.max_num_vgpr, 0
	.set amdgpu.max_num_agpr, 0
	.set amdgpu.max_num_sgpr, 0
	.section	.AMDGPU.csdata,"",@progbits
	.type	__hip_cuid_759018b908b79860,@object ; @__hip_cuid_759018b908b79860
	.section	.bss,"aw",@nobits
	.globl	__hip_cuid_759018b908b79860
__hip_cuid_759018b908b79860:
	.byte	0                               ; 0x0
	.size	__hip_cuid_759018b908b79860, 1

	.ident	"AMD clang version 22.0.0git (https://github.com/RadeonOpenCompute/llvm-project roc-7.2.4 26084 f58b06dce1f9c15707c5f808fd002e18c2accf7e)"
	.section	".note.GNU-stack","",@progbits
	.addrsig
	.addrsig_sym __hip_cuid_759018b908b79860
	.amdgpu_metadata
---
amdhsa.kernels:
  - .args:
      - .address_space:  global
        .offset:         0
        .size:           8
        .value_kind:     global_buffer
      - .address_space:  global
        .offset:         8
        .size:           8
        .value_kind:     global_buffer
      - .address_space:  global
        .offset:         16
        .size:           8
        .value_kind:     global_buffer
      - .address_space:  global
        .offset:         24
        .size:           8
        .value_kind:     global_buffer
      - .address_space:  global
        .offset:         32
        .size:           8
        .value_kind:     global_buffer
      - .address_space:  global
        .offset:         40
        .size:           8
        .value_kind:     global_buffer
      - .address_space:  global
        .offset:         48
        .size:           8
        .value_kind:     global_buffer
      - .address_space:  global
        .offset:         56
        .size:           8
        .value_kind:     global_buffer
      - .address_space:  global
        .offset:         64
        .size:           8
        .value_kind:     global_buffer
      - .address_space:  global
        .offset:         72
        .size:           8
        .value_kind:     global_buffer
      - .address_space:  global
        .offset:         80
        .size:           8
        .value_kind:     global_buffer
      - .address_space:  global
        .offset:         88
        .size:           8
        .value_kind:     global_buffer
      - .address_space:  global
        .offset:         96
        .size:           8
        .value_kind:     global_buffer
      - .address_space:  global
        .offset:         104
        .size:           8
        .value_kind:     global_buffer
      - .address_space:  global
        .offset:         112
        .size:           8
        .value_kind:     global_buffer
      - .address_space:  global
        .offset:         120
        .size:           8
        .value_kind:     global_buffer
      - .address_space:  global
        .offset:         128
        .size:           8
        .value_kind:     global_buffer
      - .address_space:  global
        .offset:         136
        .size:           8
        .value_kind:     global_buffer
      - .address_space:  global
        .offset:         144
        .size:           8
        .value_kind:     global_buffer
      - .address_space:  global
        .offset:         152
        .size:           8
        .value_kind:     global_buffer
      - .address_space:  global
        .offset:         160
        .size:           8
        .value_kind:     global_buffer
      - .address_space:  global
        .offset:         168
        .size:           8
        .value_kind:     global_buffer
      - .address_space:  global
        .offset:         176
        .size:           8
        .value_kind:     global_buffer
      - .address_space:  global
        .offset:         184
        .size:           8
        .value_kind:     global_buffer
      - .address_space:  global
        .offset:         192
        .size:           8
        .value_kind:     global_buffer
      - .offset:         200
        .size:           8
        .value_kind:     by_value
      - .offset:         208
        .size:           8
        .value_kind:     by_value
      - .offset:         216
        .size:           8
        .value_kind:     by_value
    .group_segment_fixed_size: 0
    .kernarg_segment_align: 8
    .kernarg_segment_size: 224
    .language:       OpenCL C
    .language_version:
      - 2
      - 0
    .max_flat_workgroup_size: 256
    .name:           _ZN8rajaperf4apps5vol3dILm256EEEvPdS2_S2_S2_S2_S2_S2_S2_S2_S2_S2_S2_S2_S2_S2_S2_S2_S2_S2_S2_S2_S2_S2_S2_S2_dll
    .private_segment_fixed_size: 0
    .sgpr_count:     72
    .sgpr_spill_count: 0
    .symbol:         _ZN8rajaperf4apps5vol3dILm256EEEvPdS2_S2_S2_S2_S2_S2_S2_S2_S2_S2_S2_S2_S2_S2_S2_S2_S2_S2_S2_S2_S2_S2_S2_S2_dll.kd
    .uniform_work_group_size: 1
    .uses_dynamic_stack: false
    .vgpr_count:     48
    .vgpr_spill_count: 0
    .wavefront_size: 64
  - .args:
      - .offset:         0
        .size:           208
        .value_kind:     by_value
      - .offset:         208
        .size:           8
        .value_kind:     by_value
      - .offset:         216
        .size:           8
        .value_kind:     by_value
      - .offset:         224
        .size:           1
        .value_kind:     by_value
    .group_segment_fixed_size: 0
    .kernarg_segment_align: 8
    .kernarg_segment_size: 228
    .language:       OpenCL C
    .language_version:
      - 2
      - 0
    .max_flat_workgroup_size: 256
    .name:           _ZN4RAJA6policy3hip4impl18forallp_hip_kernelINS1_8hip_execINS_17iteration_mapping6DirectENS_3hip11IndexGlobalILNS_9named_dimE0ELi256ELi0EEENS7_40AvoidDeviceMaxThreadOccupancyConcretizerINS7_34FractionOffsetOccupancyConcretizerINS_8FractionImLm1ELm1EEELln1EEEEELb1EEENS_9Iterators16numeric_iteratorIllPlEEZN8rajaperf4apps5VOL3D17runHipVariantImplILm256EEEvNSM_9VariantIDEEUllE_lNS_4expt15ForallParamPackIJEEES6_SA_TnNSt9enable_ifIXaasr3std10is_base_ofINS5_10DirectBaseET4_EE5valuegtsrT5_10block_sizeLi0EEmE4typeELm256EEEvT1_T0_T2_T3_
    .private_segment_fixed_size: 0
    .sgpr_count:     72
    .sgpr_spill_count: 0
    .symbol:         _ZN4RAJA6policy3hip4impl18forallp_hip_kernelINS1_8hip_execINS_17iteration_mapping6DirectENS_3hip11IndexGlobalILNS_9named_dimE0ELi256ELi0EEENS7_40AvoidDeviceMaxThreadOccupancyConcretizerINS7_34FractionOffsetOccupancyConcretizerINS_8FractionImLm1ELm1EEELln1EEEEELb1EEENS_9Iterators16numeric_iteratorIllPlEEZN8rajaperf4apps5VOL3D17runHipVariantImplILm256EEEvNSM_9VariantIDEEUllE_lNS_4expt15ForallParamPackIJEEES6_SA_TnNSt9enable_ifIXaasr3std10is_base_ofINS5_10DirectBaseET4_EE5valuegtsrT5_10block_sizeLi0EEmE4typeELm256EEEvT1_T0_T2_T3_.kd
    .uniform_work_group_size: 1
    .uses_dynamic_stack: false
    .vgpr_count:     48
    .vgpr_spill_count: 0
    .wavefront_size: 64
amdhsa.target:   amdgcn-amd-amdhsa--gfx906
amdhsa.version:
  - 1
  - 2
...

	.end_amdgpu_metadata
